;; amdgpu-corpus repo=zjin-lcf/HeCBench kind=compiled arch=gfx1250 opt=O3
	.amdgcn_target "amdgcn-amd-amdhsa--gfx1250"
	.amdhsa_code_object_version 6
	.text
	.protected	_Z7bsplinePKflllPfS1_S1_S0_S0_S0_S0_S0_S0_S0_S0_S0_fffiiiii ; -- Begin function _Z7bsplinePKflllPfS1_S1_S0_S0_S0_S0_S0_S0_S0_S0_S0_fffiiiii
	.globl	_Z7bsplinePKflllPfS1_S1_S0_S0_S0_S0_S0_S0_S0_S0_S0_fffiiiii
	.p2align	8
	.type	_Z7bsplinePKflllPfS1_S1_S0_S0_S0_S0_S0_S0_S0_S0_S0_fffiiiii,@function
_Z7bsplinePKflllPfS1_S1_S0_S0_S0_S0_S0_S0_S0_S0_S0_fffiiiii: ; @_Z7bsplinePKflllPfS1_S1_S0_S0_S0_S0_S0_S0_S0_S0_S0_fffiiiii
; %bb.0:
	s_load_b32 s2, s[0:1], 0xac
	s_bfe_u32 s12, ttmp6, 0x4000c
	s_load_b256 s[4:11], s[0:1], 0x80
	s_add_co_i32 s12, s12, 1
	s_and_b32 s3, ttmp6, 15
	s_mul_i32 s12, ttmp9, s12
	s_getreg_b32 s13, hwreg(HW_REG_IB_STS2, 6, 4)
	s_add_co_i32 s3, s3, s12
	s_wait_kmcnt 0x0
	s_and_b32 s2, s2, 0xffff
	s_cmp_eq_u32 s13, 0
	s_cselect_b32 s3, ttmp9, s3
	s_delay_alu instid0(SALU_CYCLE_1) | instskip(SKIP_1) | instid1(VALU_DEP_1)
	v_mad_u32 v0, s3, s2, v0
	s_mov_b32 s2, exec_lo
	v_cmpx_gt_i32_e64 s7, v0
	s_cbranch_execz .LBB0_4
; %bb.1:
	s_clause 0x5
	s_load_b256 s[12:19], s[0:1], 0x28
	s_load_b256 s[36:43], s[0:1], 0x48
	s_load_b256 s[20:27], s[0:1], 0x8
	s_load_b64 s[34:35], s[0:1], 0x78
	s_load_b64 s[70:71], s[0:1], 0x0
	s_load_b128 s[28:31], s[0:1], 0x68
	s_ashr_i32 s45, s9, 31
	s_mov_b32 s44, s9
	s_ashr_i32 s61, s10, 31
	s_mov_b32 s60, s10
	v_dual_mov_b32 v4, 0 :: v_dual_ashrrev_i32 v1, 31, v0
	s_wait_kmcnt 0x0
	s_load_b128 s[0:3], s[18:19], 0x0
	s_load_b128 s[48:51], s[40:41], 0x0
	;; [unrolled: 1-line block ×4, first 2 shown]
	s_wait_xcnt 0x0
	s_ashr_i32 s19, s11, 31
	s_load_b128 s[40:43], s[34:35], 0x0
	s_mov_b32 s18, s11
	s_mul_u64 s[10:11], s[20:21], s[44:45]
	s_mul_u64 s[44:45], s[22:23], s[60:61]
	s_lshl_b64 s[36:37], s[18:19], 2
	s_lshl_b64 s[62:63], s[44:45], 2
	s_load_b128 s[44:47], s[30:31], 0x0
	s_wait_xcnt 0x0
	s_add_nc_u64 s[30:31], s[36:37], 8
	s_mul_u64 s[18:19], s[24:25], s[18:19]
	s_lshl_b64 s[34:35], s[10:11], 2
	s_mul_u64 s[30:31], s[24:25], s[30:31]
	s_add_nc_u64 s[10:11], s[70:71], s[34:35]
	s_lshl_b64 s[18:19], s[18:19], 2
	s_add_nc_u64 s[10:11], s[10:11], s[62:63]
	s_add_nc_u64 s[66:67], s[34:35], s[30:31]
	s_add_nc_u64 s[10:11], s[10:11], s[18:19]
	s_add_nc_u64 s[18:19], s[18:19], s[34:35]
	s_wait_kmcnt 0x0
	s_mov_b32 s78, s58
	s_mov_b32 s79, s54
	;; [unrolled: 1-line block ×3, first 2 shown]
	s_add_nc_u64 s[58:59], s[36:37], 12
	s_add_nc_u64 s[36:37], s[36:37], 4
	s_mul_u64 s[58:59], s[24:25], s[58:59]
	s_mul_u64 s[24:25], s[24:25], s[36:37]
	s_lshl_b64 s[36:37], s[60:61], 2
	s_mov_b32 s76, s56
	s_add_nc_u64 s[84:85], s[36:37], 12
	s_mov_b32 s77, s52
	s_mov_b32 s52, s57
	s_add_nc_u64 s[56:57], s[62:63], s[34:35]
	s_mul_u64 s[84:85], s[22:23], s[84:85]
	s_add_nc_u64 s[64:65], s[56:57], s[58:59]
	s_add_nc_u64 s[58:59], s[34:35], s[58:59]
	;; [unrolled: 1-line block ×4, first 2 shown]
	s_mov_b32 s72, s0
	s_mov_b32 s73, s48
	;; [unrolled: 1-line block ×6, first 2 shown]
	s_add_nc_u64 s[62:63], s[56:57], s[30:31]
	s_add_nc_u64 s[56:57], s[56:57], s[24:25]
	;; [unrolled: 1-line block ×5, first 2 shown]
	v_lshlrev_b64_e32 v[2:3], 2, v[0:1]
	v_mov_b64_e32 v[10:11], s[40:41]
	v_mov_b64_e32 v[12:13], s[42:43]
	;; [unrolled: 1-line block ×10, first 2 shown]
	s_mul_u64 s[60:61], s[22:23], s[60:61]
	s_mul_u64 s[22:23], s[22:23], s[24:25]
	v_dual_mov_b32 v5, v4 :: v_dual_mov_b32 v32, v4
	v_dual_mov_b32 v33, v4 :: v_dual_mov_b32 v28, v4
	;; [unrolled: 1-line block ×4, first 2 shown]
	v_mov_b32_e32 v7, v4
	s_add_nc_u64 s[68:69], s[66:67], s[60:61]
	s_add_nc_u64 s[80:81], s[58:59], s[60:61]
	;; [unrolled: 1-line block ×11, first 2 shown]
	s_lshl_b64 s[18:19], s[20:21], 2
	s_add_nc_u64 s[20:21], s[70:71], s[62:63]
	s_add_nc_u64 s[22:23], s[70:71], s[64:65]
	;; [unrolled: 1-line block ×15, first 2 shown]
	s_mov_b64 s[50:51], 0
.LBB0_2:                                ; =>This Inner Loop Header: Depth=1
	v_add_nc_u64_e32 v[34:35], s[10:11], v[2:3]
	v_add_nc_u64_e32 v[36:37], s[24:25], v[2:3]
	;; [unrolled: 1-line block ×7, first 2 shown]
	global_load_b32 v44, v[34:35], off
	global_load_b32 v45, v[36:37], off
	;; [unrolled: 1-line block ×4, first 2 shown]
	v_add_nc_u64_e32 v[62:63], s[64:65], v[2:3]
	v_add_nc_u64_e32 v[38:39], s[20:21], v[2:3]
	v_add_nc_u64_e32 v[50:51], s[22:23], v[2:3]
	v_add_nc_u64_e32 v[52:53], s[68:69], v[2:3]
	s_wait_xcnt 0x3
	v_add_nc_u64_e32 v[34:35], s[58:59], v[2:3]
	v_add_nc_u64_e32 v[54:55], s[42:43], v[2:3]
	;; [unrolled: 1-line block ×5, first 2 shown]
	global_load_b32 v49, v[48:49], off
	global_load_b32 v43, v[64:65], off
	;; [unrolled: 1-line block ×12, first 2 shown]
	s_add_nc_u64 s[70:71], s[16:17], s[50:51]
	s_add_nc_u64 s[52:53], s[28:29], s[50:51]
	;; [unrolled: 1-line block ×3, first 2 shown]
	s_load_b32 s71, s[70:71], 0x0
	s_nop 0
	s_load_b32 s52, s[52:53], 0x0
	s_wait_xcnt 0x0
	s_load_b32 s53, s[54:55], 0x0
	s_add_nc_u64 s[50:51], s[50:51], 4
	s_add_nc_u64 s[10:11], s[10:11], s[18:19]
	;; [unrolled: 1-line block ×16, first 2 shown]
	s_cmp_lg_u32 s50, 16
	s_wait_kmcnt 0x0
	s_mul_f32 s7, s44, s71
	s_mul_f32 s9, s45, s71
	v_mov_b64_e32 v[50:51], s[52:53]
	s_mov_b32 s70, s53
	s_mul_f32 s40, s0, s71
	s_mul_f32 s54, s1, s71
	;; [unrolled: 1-line block ×6, first 2 shown]
	s_add_nc_u64 s[48:49], s[48:49], s[18:19]
	s_wait_loadcnt 0xe
	v_dual_mov_b32 v52, v45 :: v_dual_mul_f32 v54, s41, v45
	s_wait_loadcnt 0xc
	v_dual_mov_b32 v60, v47 :: v_dual_mul_f32 v56, s41, v47
	s_wait_loadcnt 0xb
	v_mul_f32_e32 v58, s41, v49
	v_pk_mul_f32 v[52:53], v[22:23], v[52:53] op_sel_hi:[1,0]
	v_pk_fma_f32 v[54:55], v[10:11], v[44:45], v[54:55] op_sel_hi:[1,1,0]
	v_pk_fma_f32 v[56:57], v[10:11], v[46:47], v[56:57] op_sel_hi:[1,1,0]
	s_wait_loadcnt 0x9
	v_pk_fma_f32 v[58:59], v[10:11], v[48:49], v[58:59] op_sel_hi:[1,1,0]
	v_pk_fma_f32 v[44:45], v[24:25], v[44:45], v[52:53] op_sel_hi:[1,0,1]
	v_mov_b32_e32 v52, v49
	v_pk_mul_f32 v[60:61], v[22:23], v[60:61] op_sel_hi:[1,0]
	s_wait_loadcnt 0x6
	v_pk_fma_f32 v[54:55], v[12:13], v[40:41], v[54:55]
	s_wait_loadcnt 0x4
	v_pk_fma_f32 v[56:57], v[12:13], v[38:39], v[56:57]
	v_pk_fma_f32 v[44:45], v[26:27], v[40:41], v[44:45] op_sel_hi:[1,0,1]
	v_pk_mul_f32 v[52:53], v[22:23], v[52:53] op_sel_hi:[1,0]
	v_pk_fma_f32 v[46:47], v[24:25], v[46:47], v[60:61] op_sel_hi:[1,0,1]
	v_mov_b32_e32 v60, v43
	s_wait_loadcnt 0x2
	v_pk_fma_f32 v[58:59], v[12:13], v[36:37], v[58:59]
	v_pk_fma_f32 v[48:49], v[24:25], v[48:49], v[52:53] op_sel_hi:[1,0,1]
	v_mul_f32_e32 v52, s41, v43
	v_pk_mul_f32 v[60:61], v[22:23], v[60:61] op_sel_hi:[1,0]
	v_pk_fma_f32 v[46:47], v[26:27], v[38:39], v[46:47] op_sel_hi:[1,0,1]
	s_delay_alu instid0(VALU_DEP_4) | instskip(NEXT) | instid1(VALU_DEP_4)
	v_pk_fma_f32 v[48:49], v[26:27], v[36:37], v[48:49] op_sel_hi:[1,0,1]
	v_pk_fma_f32 v[52:53], v[10:11], v[42:43], v[52:53] op_sel_hi:[1,1,0]
	s_delay_alu instid0(VALU_DEP_4)
	v_pk_fma_f32 v[42:43], v[24:25], v[42:43], v[60:61] op_sel_hi:[1,0,1]
	v_pk_mul_f32 v[60:61], v[12:13], v[40:41]
	v_mov_b32_e32 v40, v41
	s_wait_loadcnt 0x0
	v_pk_fma_f32 v[52:53], v[12:13], v[34:35], v[52:53]
	v_pk_fma_f32 v[42:43], v[26:27], v[34:35], v[42:43] op_sel_hi:[1,0,1]
	v_mov_b32_e32 v60, v61
	v_pk_fma_f32 v[40:41], v[30:31], v[40:41], v[44:45] op_sel_hi:[1,0,1]
	v_mov_b32_e32 v44, s7
	s_delay_alu instid0(VALU_DEP_3) | instskip(SKIP_1) | instid1(VALU_DEP_1)
	v_pk_add_f32 v[54:55], v[54:55], v[60:61]
	v_pk_mul_f32 v[60:61], v[12:13], v[38:39]
	v_dual_mov_b32 v38, v39 :: v_dual_mov_b32 v60, v61
	s_delay_alu instid0(VALU_DEP_1) | instskip(SKIP_1) | instid1(VALU_DEP_3)
	v_pk_fma_f32 v[38:39], v[30:31], v[38:39], v[46:47] op_sel_hi:[1,0,1]
	v_mov_b32_e32 v46, s9
	v_pk_add_f32 v[56:57], v[56:57], v[60:61]
	v_pk_mul_f32 v[60:61], v[12:13], v[36:37]
	s_delay_alu instid0(VALU_DEP_1) | instskip(NEXT) | instid1(VALU_DEP_1)
	v_dual_mov_b32 v36, v37 :: v_dual_mov_b32 v60, v61
	v_pk_fma_f32 v[36:37], v[30:31], v[36:37], v[48:49] op_sel_hi:[1,0,1]
	v_pk_mul_f32 v[48:49], v[14:15], v[50:51]
	s_delay_alu instid0(VALU_DEP_3) | instskip(SKIP_1) | instid1(VALU_DEP_3)
	v_pk_add_f32 v[58:59], v[58:59], v[60:61]
	v_pk_mul_f32 v[60:61], v[12:13], v[34:35]
	v_pk_fma_f32 v[32:33], v[48:49], v[40:41], v[32:33] op_sel_hi:[1,0,1]
	s_delay_alu instid0(VALU_DEP_2) | instskip(NEXT) | instid1(VALU_DEP_1)
	v_dual_mov_b32 v34, v35 :: v_dual_mov_b32 v60, v61
	v_pk_fma_f32 v[34:35], v[30:31], v[34:35], v[42:43] op_sel_hi:[1,0,1]
	v_mov_b32_e32 v59, v37
	s_delay_alu instid0(VALU_DEP_3) | instskip(SKIP_1) | instid1(VALU_DEP_4)
	v_pk_add_f32 v[52:53], v[52:53], v[60:61]
	v_mov_b64_e32 v[60:61], s[70:71]
	v_mov_b32_e32 v53, v35
	s_delay_alu instid0(VALU_DEP_2) | instskip(NEXT) | instid1(VALU_DEP_1)
	v_pk_mul_f32 v[48:49], v[14:15], v[60:61]
	v_mov_b32_e32 v45, v49
	s_delay_alu instid0(VALU_DEP_2) | instskip(NEXT) | instid1(VALU_DEP_2)
	v_pk_fma_f32 v[4:5], v[48:49], v[40:41], v[4:5] op_sel_hi:[1,0,1]
	v_pk_fma_f32 v[28:29], v[44:45], v[40:41], v[28:29]
	v_dual_mov_b32 v44, s40 :: v_dual_mov_b32 v45, v48
	v_mov_b32_e32 v48, s33
	s_delay_alu instid0(VALU_DEP_2) | instskip(SKIP_2) | instid1(VALU_DEP_2)
	v_pk_fma_f32 v[8:9], v[44:45], v[40:41], v[8:9]
	v_pk_mul_f32 v[44:45], v[16:17], v[50:51]
	v_mov_b32_e32 v40, s55
	v_pk_fma_f32 v[32:33], v[44:45], v[38:39], v[32:33] op_sel_hi:[1,0,1]
	v_pk_mul_f32 v[44:45], v[16:17], v[60:61]
	s_delay_alu instid0(VALU_DEP_1) | instskip(NEXT) | instid1(VALU_DEP_1)
	v_dual_mov_b32 v55, v41 :: v_dual_mov_b32 v47, v45
	v_pk_fma_f32 v[6:7], s[40:41], v[54:55], v[6:7] op_sel_hi:[0,1,1]
	v_pk_mul_f32 v[54:55], v[18:19], v[60:61]
	v_pk_mul_f32 v[60:61], v[20:21], v[60:61]
	v_pk_fma_f32 v[4:5], v[44:45], v[38:39], v[4:5] op_sel_hi:[1,0,1]
	v_pk_fma_f32 v[28:29], v[46:47], v[38:39], v[28:29]
	v_dual_mov_b32 v46, s54 :: v_dual_mov_b32 v47, v44
	v_dual_mov_b32 v57, v39 :: v_dual_mov_b32 v49, v55
	;; [unrolled: 1-line block ×3, first 2 shown]
	v_mov_b32_e32 v45, v54
	s_delay_alu instid0(VALU_DEP_4)
	v_pk_fma_f32 v[8:9], v[46:47], v[38:39], v[8:9]
	v_mov_b32_e32 v39, v60
	v_pk_mul_f32 v[46:47], v[18:19], v[50:51]
	v_pk_fma_f32 v[6:7], s[54:55], v[56:57], v[6:7] op_sel_hi:[0,1,1]
	v_mov_b32_e32 v38, s74
	v_pk_mul_f32 v[50:51], v[20:21], v[50:51]
	v_pk_fma_f32 v[28:29], v[48:49], v[36:37], v[28:29]
	v_pk_fma_f32 v[32:33], v[46:47], v[36:37], v[32:33] op_sel_hi:[1,0,1]
	v_pk_fma_f32 v[4:5], v[54:55], v[36:37], v[4:5] op_sel_hi:[1,0,1]
	v_pk_fma_f32 v[8:9], v[44:45], v[36:37], v[8:9]
	v_pk_fma_f32 v[6:7], s[72:73], v[58:59], v[6:7] op_sel_hi:[0,1,1]
	v_pk_fma_f32 v[28:29], v[40:41], v[34:35], v[28:29]
	v_pk_fma_f32 v[32:33], v[50:51], v[34:35], v[32:33] op_sel_hi:[1,0,1]
	v_pk_fma_f32 v[4:5], v[60:61], v[34:35], v[4:5] op_sel_hi:[1,0,1]
	v_pk_fma_f32 v[8:9], v[38:39], v[34:35], v[8:9]
	v_pk_fma_f32 v[6:7], s[74:75], v[52:53], v[6:7] op_sel_hi:[0,1,1]
	s_cbranch_scc1 .LBB0_2
; %bb.3:
	v_lshl_add_u32 v14, v0, 3, v0
	v_pk_mul_f32 v[10:11], s[4:5], v[32:33] op_sel_hi:[0,1]
	v_dual_mov_b32 v12, s4 :: v_dual_mov_b32 v13, s5
	s_mul_i32 s0, s8, 0x7d3
	s_mul_i32 s2, s8, 0x177c
	s_mulk_i32 s8, 0x4674
	v_mov_b64_e32 v[16:17], s[4:5]
	s_ashr_i32 s9, s8, 31
	v_lshl_add_u32 v2, v0, 1, v0
	v_dual_ashrrev_i32 v15, 31, v14 :: v_dual_mul_f32 v9, s4, v9
	v_pk_mul_f32 v[10:11], v[12:13], v[10:11]
	s_lshl_b64 s[8:9], s[8:9], 2
	s_delay_alu instid0(VALU_DEP_3)
	v_ashrrev_i32_e32 v3, 31, v2
	s_add_nc_u64 s[8:9], s[14:15], s[8:9]
	v_mul_f32_e32 v12, s6, v9
	v_lshl_add_u64 v[18:19], v[14:15], 2, s[8:9]
	v_dual_mov_b32 v13, v11 :: v_dual_mov_b32 v22, s5
	v_pk_mul_f32 v[20:21], v[16:17], v[28:29] op_sel:[1,0]
	v_dual_mov_b32 v23, s6 :: v_dual_mul_f32 v6, s6, v6
	s_ashr_i32 s1, s0, 31
	s_ashr_i32 s3, s2, 31
	s_lshl_b64 s[0:1], s[0:1], 2
	s_lshl_b64 s[2:3], s[2:3], 2
	s_add_nc_u64 s[0:1], s[26:27], s[0:1]
	global_store_b128 v[18:19], v[10:13], off
	s_wait_xcnt 0x0
	v_pk_mul_f32 v[10:11], v[22:23], v[20:21]
	v_lshl_add_u64 v[24:25], v[0:1], 2, s[0:1]
	s_add_nc_u64 s[0:1], s[12:13], s[2:3]
	v_pk_mul_f32 v[0:1], v[16:17], v[4:5]
	v_lshl_add_u64 v[20:21], v[2:3], 2, s[0:1]
	v_dual_mul_f32 v2, s6, v7 :: v_dual_mov_b32 v13, v11
	v_mul_f32_e32 v3, s6, v6
	global_store_b32 v[24:25], v8, off
	global_store_b96 v[20:21], v[0:2], off
	s_clause 0x1
	global_store_b128 v[18:19], v[10:13], off offset:16
	global_store_b32 v14, v3, s[8:9] offset:32 scale_offset
.LBB0_4:
	s_sendmsg sendmsg(MSG_DEALLOC_VGPRS)
	s_endpgm
	.section	.rodata,"a",@progbits
	.p2align	6, 0x0
	.amdhsa_kernel _Z7bsplinePKflllPfS1_S1_S0_S0_S0_S0_S0_S0_S0_S0_S0_fffiiiii
		.amdhsa_group_segment_fixed_size 0
		.amdhsa_private_segment_fixed_size 0
		.amdhsa_kernarg_size 416
		.amdhsa_user_sgpr_count 2
		.amdhsa_user_sgpr_dispatch_ptr 0
		.amdhsa_user_sgpr_queue_ptr 0
		.amdhsa_user_sgpr_kernarg_segment_ptr 1
		.amdhsa_user_sgpr_dispatch_id 0
		.amdhsa_user_sgpr_kernarg_preload_length 0
		.amdhsa_user_sgpr_kernarg_preload_offset 0
		.amdhsa_user_sgpr_private_segment_size 0
		.amdhsa_wavefront_size32 1
		.amdhsa_uses_dynamic_stack 0
		.amdhsa_enable_private_segment 0
		.amdhsa_system_sgpr_workgroup_id_x 1
		.amdhsa_system_sgpr_workgroup_id_y 0
		.amdhsa_system_sgpr_workgroup_id_z 0
		.amdhsa_system_sgpr_workgroup_info 0
		.amdhsa_system_vgpr_workitem_id 0
		.amdhsa_next_free_vgpr 68
		.amdhsa_next_free_sgpr 100
		.amdhsa_named_barrier_count 0
		.amdhsa_reserve_vcc 0
		.amdhsa_float_round_mode_32 0
		.amdhsa_float_round_mode_16_64 0
		.amdhsa_float_denorm_mode_32 3
		.amdhsa_float_denorm_mode_16_64 3
		.amdhsa_fp16_overflow 0
		.amdhsa_memory_ordered 1
		.amdhsa_forward_progress 1
		.amdhsa_inst_pref_size 17
		.amdhsa_round_robin_scheduling 0
		.amdhsa_exception_fp_ieee_invalid_op 0
		.amdhsa_exception_fp_denorm_src 0
		.amdhsa_exception_fp_ieee_div_zero 0
		.amdhsa_exception_fp_ieee_overflow 0
		.amdhsa_exception_fp_ieee_underflow 0
		.amdhsa_exception_fp_ieee_inexact 0
		.amdhsa_exception_int_div_zero 0
	.end_amdhsa_kernel
	.text
.Lfunc_end0:
	.size	_Z7bsplinePKflllPfS1_S1_S0_S0_S0_S0_S0_S0_S0_S0_S0_fffiiiii, .Lfunc_end0-_Z7bsplinePKflllPfS1_S1_S0_S0_S0_S0_S0_S0_S0_S0_S0_fffiiiii
                                        ; -- End function
	.set _Z7bsplinePKflllPfS1_S1_S0_S0_S0_S0_S0_S0_S0_S0_S0_fffiiiii.num_vgpr, 68
	.set _Z7bsplinePKflllPfS1_S1_S0_S0_S0_S0_S0_S0_S0_S0_S0_fffiiiii.num_agpr, 0
	.set _Z7bsplinePKflllPfS1_S1_S0_S0_S0_S0_S0_S0_S0_S0_S0_fffiiiii.numbered_sgpr, 100
	.set _Z7bsplinePKflllPfS1_S1_S0_S0_S0_S0_S0_S0_S0_S0_S0_fffiiiii.num_named_barrier, 0
	.set _Z7bsplinePKflllPfS1_S1_S0_S0_S0_S0_S0_S0_S0_S0_S0_fffiiiii.private_seg_size, 0
	.set _Z7bsplinePKflllPfS1_S1_S0_S0_S0_S0_S0_S0_S0_S0_S0_fffiiiii.uses_vcc, 0
	.set _Z7bsplinePKflllPfS1_S1_S0_S0_S0_S0_S0_S0_S0_S0_S0_fffiiiii.uses_flat_scratch, 0
	.set _Z7bsplinePKflllPfS1_S1_S0_S0_S0_S0_S0_S0_S0_S0_S0_fffiiiii.has_dyn_sized_stack, 0
	.set _Z7bsplinePKflllPfS1_S1_S0_S0_S0_S0_S0_S0_S0_S0_S0_fffiiiii.has_recursion, 0
	.set _Z7bsplinePKflllPfS1_S1_S0_S0_S0_S0_S0_S0_S0_S0_S0_fffiiiii.has_indirect_call, 0
	.section	.AMDGPU.csdata,"",@progbits
; Kernel info:
; codeLenInByte = 2052
; TotalNumSgprs: 100
; NumVgprs: 68
; ScratchSize: 0
; MemoryBound: 0
; FloatMode: 240
; IeeeMode: 1
; LDSByteSize: 0 bytes/workgroup (compile time only)
; SGPRBlocks: 0
; VGPRBlocks: 4
; NumSGPRsForWavesPerEU: 100
; NumVGPRsForWavesPerEU: 68
; NamedBarCnt: 0
; Occupancy: 12
; WaveLimiterHint : 0
; COMPUTE_PGM_RSRC2:SCRATCH_EN: 0
; COMPUTE_PGM_RSRC2:USER_SGPR: 2
; COMPUTE_PGM_RSRC2:TRAP_HANDLER: 0
; COMPUTE_PGM_RSRC2:TGID_X_EN: 1
; COMPUTE_PGM_RSRC2:TGID_Y_EN: 0
; COMPUTE_PGM_RSRC2:TGID_Z_EN: 0
; COMPUTE_PGM_RSRC2:TIDIG_COMP_CNT: 0
	.text
	.p2alignl 7, 3214868480
	.fill 96, 4, 3214868480
	.section	.AMDGPU.gpr_maximums,"",@progbits
	.set amdgpu.max_num_vgpr, 0
	.set amdgpu.max_num_agpr, 0
	.set amdgpu.max_num_sgpr, 0
	.text
	.type	__hip_cuid_f7d00b1c2fd07c0e,@object ; @__hip_cuid_f7d00b1c2fd07c0e
	.section	.bss,"aw",@nobits
	.globl	__hip_cuid_f7d00b1c2fd07c0e
__hip_cuid_f7d00b1c2fd07c0e:
	.byte	0                               ; 0x0
	.size	__hip_cuid_f7d00b1c2fd07c0e, 1

	.ident	"AMD clang version 22.0.0git (https://github.com/RadeonOpenCompute/llvm-project roc-7.2.4 26084 f58b06dce1f9c15707c5f808fd002e18c2accf7e)"
	.section	".note.GNU-stack","",@progbits
	.addrsig
	.addrsig_sym __hip_cuid_f7d00b1c2fd07c0e
	.amdgpu_metadata
---
amdhsa.kernels:
  - .args:
      - .actual_access:  read_only
        .address_space:  global
        .offset:         0
        .size:           8
        .value_kind:     global_buffer
      - .offset:         8
        .size:           8
        .value_kind:     by_value
      - .offset:         16
        .size:           8
        .value_kind:     by_value
      - .offset:         24
        .size:           8
        .value_kind:     by_value
      - .actual_access:  write_only
        .address_space:  global
        .offset:         32
        .size:           8
        .value_kind:     global_buffer
      - .actual_access:  write_only
        .address_space:  global
        .offset:         40
        .size:           8
        .value_kind:     global_buffer
      - .actual_access:  write_only
        .address_space:  global
        .offset:         48
        .size:           8
        .value_kind:     global_buffer
      - .actual_access:  read_only
        .address_space:  global
        .offset:         56
        .size:           8
        .value_kind:     global_buffer
      - .actual_access:  read_only
        .address_space:  global
        .offset:         64
        .size:           8
        .value_kind:     global_buffer
      - .actual_access:  read_only
        .address_space:  global
        .offset:         72
        .size:           8
        .value_kind:     global_buffer
      - .actual_access:  read_only
        .address_space:  global
        .offset:         80
        .size:           8
        .value_kind:     global_buffer
      - .actual_access:  read_only
        .address_space:  global
        .offset:         88
        .size:           8
        .value_kind:     global_buffer
      - .actual_access:  read_only
        .address_space:  global
        .offset:         96
        .size:           8
        .value_kind:     global_buffer
      - .actual_access:  read_only
        .address_space:  global
        .offset:         104
        .size:           8
        .value_kind:     global_buffer
      - .actual_access:  read_only
        .address_space:  global
        .offset:         112
        .size:           8
        .value_kind:     global_buffer
      - .actual_access:  read_only
        .address_space:  global
        .offset:         120
        .size:           8
        .value_kind:     global_buffer
      - .offset:         128
        .size:           4
        .value_kind:     by_value
      - .offset:         132
        .size:           4
        .value_kind:     by_value
      - .offset:         136
        .size:           4
        .value_kind:     by_value
      - .offset:         140
        .size:           4
        .value_kind:     by_value
      - .offset:         144
        .size:           4
        .value_kind:     by_value
      - .offset:         148
        .size:           4
        .value_kind:     by_value
      - .offset:         152
        .size:           4
        .value_kind:     by_value
      - .offset:         156
        .size:           4
        .value_kind:     by_value
      - .offset:         160
        .size:           4
        .value_kind:     hidden_block_count_x
      - .offset:         164
        .size:           4
        .value_kind:     hidden_block_count_y
      - .offset:         168
        .size:           4
        .value_kind:     hidden_block_count_z
      - .offset:         172
        .size:           2
        .value_kind:     hidden_group_size_x
      - .offset:         174
        .size:           2
        .value_kind:     hidden_group_size_y
      - .offset:         176
        .size:           2
        .value_kind:     hidden_group_size_z
      - .offset:         178
        .size:           2
        .value_kind:     hidden_remainder_x
      - .offset:         180
        .size:           2
        .value_kind:     hidden_remainder_y
      - .offset:         182
        .size:           2
        .value_kind:     hidden_remainder_z
      - .offset:         200
        .size:           8
        .value_kind:     hidden_global_offset_x
      - .offset:         208
        .size:           8
        .value_kind:     hidden_global_offset_y
      - .offset:         216
        .size:           8
        .value_kind:     hidden_global_offset_z
      - .offset:         224
        .size:           2
        .value_kind:     hidden_grid_dims
    .group_segment_fixed_size: 0
    .kernarg_segment_align: 8
    .kernarg_segment_size: 416
    .language:       OpenCL C
    .language_version:
      - 2
      - 0
    .max_flat_workgroup_size: 1024
    .name:           _Z7bsplinePKflllPfS1_S1_S0_S0_S0_S0_S0_S0_S0_S0_S0_fffiiiii
    .private_segment_fixed_size: 0
    .sgpr_count:     100
    .sgpr_spill_count: 0
    .symbol:         _Z7bsplinePKflllPfS1_S1_S0_S0_S0_S0_S0_S0_S0_S0_S0_fffiiiii.kd
    .uniform_work_group_size: 1
    .uses_dynamic_stack: false
    .vgpr_count:     68
    .vgpr_spill_count: 0
    .wavefront_size: 32
amdhsa.target:   amdgcn-amd-amdhsa--gfx1250
amdhsa.version:
  - 1
  - 2
...

	.end_amdgpu_metadata
